;; amdgpu-corpus repo=ROCm/rocFFT kind=compiled arch=gfx906 opt=O3
	.text
	.amdgcn_target "amdgcn-amd-amdhsa--gfx906"
	.amdhsa_code_object_version 6
	.protected	fft_rtc_fwd_len55_factors_5_11_wgs_55_tpt_11_dim1_dp_ip_CI_unitstride_sbrr_dirReg ; -- Begin function fft_rtc_fwd_len55_factors_5_11_wgs_55_tpt_11_dim1_dp_ip_CI_unitstride_sbrr_dirReg
	.globl	fft_rtc_fwd_len55_factors_5_11_wgs_55_tpt_11_dim1_dp_ip_CI_unitstride_sbrr_dirReg
	.p2align	8
	.type	fft_rtc_fwd_len55_factors_5_11_wgs_55_tpt_11_dim1_dp_ip_CI_unitstride_sbrr_dirReg,@function
fft_rtc_fwd_len55_factors_5_11_wgs_55_tpt_11_dim1_dp_ip_CI_unitstride_sbrr_dirReg: ; @fft_rtc_fwd_len55_factors_5_11_wgs_55_tpt_11_dim1_dp_ip_CI_unitstride_sbrr_dirReg
; %bb.0:
	s_load_dwordx4 s[8:11], s[4:5], 0x10
	v_mul_u32_u24_e32 v1, 0x1746, v0
	v_lshrrev_b32_e32 v1, 16, v1
	v_mad_u64_u32 v[20:21], s[6:7], s6, 5, v[1:2]
	s_load_dwordx2 s[2:3], s[4:5], 0x48
	s_waitcnt lgkmcnt(0)
	s_load_dwordx2 s[0:1], s[8:9], 0x8
	v_mul_lo_u16_e32 v1, 11, v1
	v_mov_b32_e32 v21, 0
	v_cmp_gt_u64_e32 vcc, s[10:11], v[20:21]
	v_sub_u16_e32 v46, v0, v1
	s_waitcnt lgkmcnt(0)
	v_mad_u64_u32 v[2:3], s[6:7], s0, v20, 0
	v_lshlrev_b32_e32 v94, 4, v46
                                        ; implicit-def: $vgpr18_vgpr19
                                        ; implicit-def: $vgpr10_vgpr11
                                        ; implicit-def: $vgpr14_vgpr15
                                        ; implicit-def: $vgpr6_vgpr7
	v_mad_u64_u32 v[3:4], s[0:1], s1, v20, v[3:4]
	v_lshlrev_b64 v[44:45], 4, v[2:3]
                                        ; implicit-def: $vgpr2_vgpr3
	s_and_saveexec_b64 s[6:7], vcc
	s_cbranch_execz .LBB0_2
; %bb.1:
	v_mov_b32_e32 v0, s3
	v_add_co_u32_e64 v1, s[0:1], s2, v44
	v_addc_co_u32_e64 v0, s[0:1], v0, v45, s[0:1]
	v_add_co_u32_e64 v21, s[0:1], v1, v94
	v_addc_co_u32_e64 v22, s[0:1], 0, v0, s[0:1]
	global_load_dwordx4 v[4:7], v[21:22], off
	global_load_dwordx4 v[0:3], v[21:22], off offset:176
	global_load_dwordx4 v[12:15], v[21:22], off offset:352
	;; [unrolled: 1-line block ×4, first 2 shown]
.LBB0_2:
	s_or_b64 exec, exec, s[6:7]
	s_waitcnt vmcnt(3)
	v_add_f64 v[21:22], v[0:1], v[4:5]
	v_add_f64 v[23:24], v[2:3], v[6:7]
	s_waitcnt vmcnt(1)
	v_add_f64 v[25:26], v[8:9], v[12:13]
	v_add_f64 v[29:30], v[0:1], -v[12:13]
	v_add_f64 v[31:32], v[12:13], -v[0:1]
	v_add_f64 v[33:34], v[10:11], v[14:15]
	s_waitcnt vmcnt(0)
	v_add_f64 v[37:38], v[2:3], -v[18:19]
	v_add_f64 v[39:40], v[16:17], v[0:1]
	v_add_f64 v[21:22], v[12:13], v[21:22]
	;; [unrolled: 1-line block ×3, first 2 shown]
	v_add_f64 v[41:42], v[0:1], -v[16:17]
	v_fma_f64 v[25:26], v[25:26], -0.5, v[4:5]
	s_mov_b32 s0, 0x134454ff
	s_mov_b32 s1, 0x3fee6f0e
	v_add_f64 v[27:28], v[14:15], -v[10:11]
	v_add_f64 v[12:13], v[12:13], -v[8:9]
	v_add_f64 v[0:1], v[8:9], v[21:22]
	v_add_f64 v[21:22], v[10:11], v[23:24]
	v_add_f64 v[35:36], v[2:3], -v[14:15]
	v_add_f64 v[14:15], v[14:15], -v[2:3]
	v_add_f64 v[23:24], v[18:19], v[2:3]
	v_add_f64 v[47:48], v[16:17], -v[8:9]
	v_add_f64 v[8:9], v[8:9], -v[16:17]
	v_add_f64 v[49:50], v[18:19], -v[10:11]
	v_add_f64 v[10:11], v[10:11], -v[18:19]
	v_add_f64 v[0:1], v[16:17], v[0:1]
	v_add_f64 v[2:3], v[18:19], v[21:22]
	v_fma_f64 v[16:17], v[39:40], -0.5, v[4:5]
	v_fma_f64 v[4:5], v[33:34], -0.5, v[6:7]
	v_fma_f64 v[18:19], v[37:38], s[0:1], v[25:26]
	s_mov_b32 s8, 0x4755a5e
	s_mov_b32 s7, 0xbfee6f0e
	;; [unrolled: 1-line block ×4, first 2 shown]
	v_fma_f64 v[6:7], v[23:24], -0.5, v[6:7]
	v_add_f64 v[21:22], v[47:48], v[29:30]
	v_fma_f64 v[23:24], v[41:42], s[6:7], v[4:5]
	v_fma_f64 v[18:19], v[27:28], s[8:9], v[18:19]
	;; [unrolled: 1-line block ×3, first 2 shown]
	s_mov_b32 s12, 0x372fe950
	s_mov_b32 s11, 0xbfe2cf23
	;; [unrolled: 1-line block ×4, first 2 shown]
	v_add_f64 v[29:30], v[49:50], v[35:36]
	v_fma_f64 v[23:24], v[12:13], s[10:11], v[23:24]
	v_fma_f64 v[33:34], v[41:42], s[0:1], v[4:5]
	;; [unrolled: 1-line block ×8, first 2 shown]
	v_add_f64 v[31:32], v[8:9], v[31:32]
	v_fma_f64 v[12:13], v[12:13], s[8:9], v[33:34]
	v_fma_f64 v[8:9], v[37:38], s[8:9], v[35:36]
	;; [unrolled: 1-line block ×3, first 2 shown]
	v_add_f64 v[14:15], v[10:11], v[14:15]
	v_fma_f64 v[10:11], v[41:42], s[10:11], v[25:26]
	v_fma_f64 v[23:24], v[37:38], s[10:11], v[16:17]
	;; [unrolled: 1-line block ×3, first 2 shown]
	s_mov_b32 s0, 0xcccccccd
	v_fma_f64 v[16:17], v[21:22], s[12:13], v[18:19]
	v_mul_hi_u32 v21, v20, s0
	v_fma_f64 v[18:19], v[29:30], s[12:13], v[12:13]
	v_fma_f64 v[8:9], v[31:32], s[12:13], v[8:9]
	;; [unrolled: 1-line block ×5, first 2 shown]
	v_lshrrev_b32_e32 v21, 2, v21
	v_lshl_add_u32 v21, v21, 2, v21
	v_sub_u32_e32 v20, v20, v21
	s_movk_i32 s0, 0x50
	v_mul_u32_u24_e32 v21, 55, v20
	v_mad_u32_u24 v20, v46, s0, 0
	v_lshl_add_u32 v22, v21, 4, v20
	v_cmp_gt_u16_e64 s[0:1], 5, v46
	ds_write_b128 v22, v[0:3]
	ds_write_b128 v22, v[4:7] offset:16
	ds_write_b128 v22, v[8:11] offset:32
	;; [unrolled: 1-line block ×4, first 2 shown]
	s_waitcnt lgkmcnt(0)
	; wave barrier
	s_waitcnt lgkmcnt(0)
                                        ; implicit-def: $vgpr42_vgpr43
                                        ; implicit-def: $vgpr38_vgpr39
                                        ; implicit-def: $vgpr30_vgpr31
                                        ; implicit-def: $vgpr34_vgpr35
                                        ; implicit-def: $vgpr26_vgpr27
                                        ; implicit-def: $vgpr22_vgpr23
	s_and_saveexec_b64 s[6:7], s[0:1]
	s_cbranch_execnz .LBB0_5
; %bb.3:
	s_or_b64 exec, exec, s[6:7]
	s_and_b64 s[0:1], vcc, s[0:1]
	s_and_saveexec_b64 s[6:7], s[0:1]
	s_cbranch_execnz .LBB0_6
.LBB0_4:
	s_endpgm
.LBB0_5:
	v_lshlrev_b32_e32 v2, 6, v46
	v_lshlrev_b32_e32 v0, 4, v21
	v_sub_u32_e32 v2, v20, v2
	v_add3_u32 v1, 0, v0, v94
	v_add_u32_e32 v40, v2, v0
	ds_read_b128 v[0:3], v1
	ds_read_b128 v[4:7], v40 offset:80
	ds_read_b128 v[8:11], v40 offset:160
	;; [unrolled: 1-line block ×10, first 2 shown]
	s_or_b64 exec, exec, s[6:7]
	s_and_b64 s[0:1], vcc, s[0:1]
	s_and_saveexec_b64 s[6:7], s[0:1]
	s_cbranch_execz .LBB0_4
.LBB0_6:
	s_load_dwordx2 s[0:1], s[4:5], 0x0
	s_movk_i32 s4, 0xcd
	v_mul_lo_u16_sdwa v47, v46, s4 dst_sel:DWORD dst_unused:UNUSED_PAD src0_sel:BYTE_0 src1_sel:DWORD
	v_lshrrev_b16_e32 v47, 10, v47
	v_mul_lo_u16_e32 v47, 5, v47
	v_sub_u16_e32 v46, v46, v47
	v_mul_lo_u16_e32 v46, 10, v46
	v_and_b32_e32 v46, 0xfe, v46
	v_lshlrev_b32_e32 v70, 4, v46
	s_waitcnt lgkmcnt(0)
	global_load_dwordx4 v[46:49], v70, s[0:1] offset:64
	global_load_dwordx4 v[50:53], v70, s[0:1] offset:80
	;; [unrolled: 1-line block ×7, first 2 shown]
	global_load_dwordx4 v[80:83], v70, s[0:1]
	global_load_dwordx4 v[90:93], v70, s[0:1] offset:144
	global_load_dwordx4 v[95:98], v70, s[0:1] offset:128
	s_mov_b32 s0, 0x9bcd5057
	s_mov_b32 s4, 0xfd768dbf
	;; [unrolled: 1-line block ×30, first 2 shown]
	s_waitcnt vmcnt(9)
	v_mul_f64 v[70:71], v[22:23], v[46:47]
	s_waitcnt vmcnt(8)
	v_mul_f64 v[72:73], v[26:27], v[50:51]
	;; [unrolled: 2-line block ×3, first 2 shown]
	v_mul_f64 v[26:27], v[26:27], v[52:53]
	s_waitcnt vmcnt(5)
	v_mul_f64 v[99:100], v[14:15], v[62:63]
	v_mul_f64 v[101:102], v[14:15], v[64:65]
	s_waitcnt vmcnt(3)
	v_mul_f64 v[14:15], v[10:11], v[66:67]
	s_waitcnt vmcnt(2)
	;; [unrolled: 2-line block ×3, first 2 shown]
	v_mul_f64 v[107:108], v[42:43], v[90:91]
	v_mul_f64 v[18:19], v[18:19], v[56:57]
	;; [unrolled: 1-line block ×5, first 2 shown]
	s_waitcnt vmcnt(0)
	v_mul_f64 v[111:112], v[38:39], v[95:96]
	v_fma_f64 v[56:57], v[16:17], v[56:57], v[74:75]
	v_fma_f64 v[74:75], v[8:9], v[68:69], v[14:15]
	;; [unrolled: 1-line block ×4, first 2 shown]
	v_mul_f64 v[22:23], v[22:23], v[48:49]
	v_mul_f64 v[86:87], v[34:35], v[60:61]
	;; [unrolled: 1-line block ×6, first 2 shown]
	v_fma_f64 v[30:31], v[24:25], v[52:53], v[72:73]
	v_fma_f64 v[34:35], v[24:25], v[50:51], -v[26:27]
	v_fma_f64 v[52:53], v[16:17], v[54:55], -v[18:19]
	v_fma_f64 v[24:25], v[32:33], v[60:61], v[84:85]
	v_fma_f64 v[84:85], v[4:5], v[80:81], -v[6:7]
	v_fma_f64 v[16:17], v[40:41], v[90:91], -v[109:110]
	v_fma_f64 v[18:19], v[36:37], v[97:98], v[111:112]
	v_add_f64 v[92:93], v[88:89], v[14:15]
	v_add_f64 v[90:91], v[88:89], -v[14:15]
	v_fma_f64 v[38:39], v[20:21], v[48:49], v[70:71]
	v_fma_f64 v[42:43], v[20:21], v[46:47], -v[22:23]
	v_fma_f64 v[26:27], v[32:33], v[58:59], -v[86:87]
	;; [unrolled: 1-line block ×4, first 2 shown]
	v_fma_f64 v[68:69], v[12:13], v[64:65], v[99:100]
	v_fma_f64 v[64:65], v[12:13], v[62:63], -v[101:102]
	v_fma_f64 v[12:13], v[28:29], v[78:79], v[103:104]
	v_fma_f64 v[22:23], v[28:29], v[76:77], -v[105:106]
	v_add_f64 v[76:77], v[84:85], -v[16:17]
	v_add_f64 v[86:87], v[74:75], v[18:19]
	v_add_f64 v[78:79], v[84:85], v[16:17]
	v_add_f64 v[82:83], v[74:75], -v[18:19]
	v_mul_f64 v[4:5], v[92:93], s[0:1]
	v_mul_f64 v[6:7], v[90:91], s[6:7]
	v_add_f64 v[58:59], v[72:73], -v[20:21]
	v_add_f64 v[60:61], v[72:73], v[20:21]
	v_add_f64 v[80:81], v[68:69], v[12:13]
	v_add_f64 v[70:71], v[68:69], -v[12:13]
	v_mul_f64 v[8:9], v[86:87], s[8:9]
	v_mul_f64 v[10:11], v[82:83], s[16:17]
	v_fma_f64 v[109:110], v[76:77], s[4:5], v[4:5]
	v_fma_f64 v[111:112], v[78:79], s[0:1], v[6:7]
	v_add_f64 v[54:55], v[64:65], -v[22:23]
	v_add_f64 v[48:49], v[64:65], v[22:23]
	v_add_f64 v[62:63], v[56:57], -v[24:25]
	v_mul_f64 v[95:96], v[80:81], s[10:11]
	v_mul_f64 v[97:98], v[70:71], s[14:15]
	v_fma_f64 v[4:5], v[76:77], s[6:7], v[4:5]
	v_fma_f64 v[117:118], v[58:59], s[12:13], v[8:9]
	;; [unrolled: 1-line block ×3, first 2 shown]
	v_add_f64 v[109:110], v[2:3], v[109:110]
	v_add_f64 v[111:112], v[0:1], v[111:112]
	;; [unrolled: 1-line block ×4, first 2 shown]
	v_add_f64 v[40:41], v[38:39], -v[30:31]
	v_mul_f64 v[101:102], v[62:63], s[30:31]
	v_fma_f64 v[6:7], v[78:79], s[0:1], -v[6:7]
	v_fma_f64 v[8:9], v[58:59], s[16:17], v[8:9]
	v_fma_f64 v[121:122], v[54:55], s[18:19], v[95:96]
	;; [unrolled: 1-line block ×3, first 2 shown]
	v_add_f64 v[4:5], v[2:3], v[4:5]
	v_add_f64 v[109:110], v[117:118], v[109:110]
	;; [unrolled: 1-line block ×3, first 2 shown]
	v_add_f64 v[46:47], v[52:53], -v[26:27]
	v_add_f64 v[50:51], v[38:39], v[30:31]
	v_add_f64 v[32:33], v[42:43], v[34:35]
	v_mul_f64 v[99:100], v[66:67], s[20:21]
	v_mul_f64 v[105:106], v[40:41], s[26:27]
	;; [unrolled: 1-line block ×3, first 2 shown]
	v_fma_f64 v[10:11], v[60:61], s[8:9], -v[10:11]
	v_fma_f64 v[95:96], v[54:55], s[14:15], v[95:96]
	v_add_f64 v[6:7], v[0:1], v[6:7]
	v_fma_f64 v[119:120], v[36:37], s[20:21], v[101:102]
	v_add_f64 v[4:5], v[8:9], v[4:5]
	v_add_f64 v[8:9], v[121:122], v[109:110]
	;; [unrolled: 1-line block ×3, first 2 shown]
	v_add_f64 v[28:29], v[42:43], -v[34:35]
	v_mul_f64 v[103:104], v[50:51], s[22:23]
	v_mul_f64 v[113:114], v[86:87], s[22:23]
	;; [unrolled: 1-line block ×3, first 2 shown]
	v_fma_f64 v[117:118], v[46:47], s[24:25], v[99:100]
	v_fma_f64 v[97:98], v[48:49], s[10:11], -v[97:98]
	v_add_f64 v[6:7], v[10:11], v[6:7]
	v_fma_f64 v[10:11], v[46:47], s[30:31], v[99:100]
	v_fma_f64 v[99:100], v[76:77], s[18:19], v[107:108]
	;; [unrolled: 1-line block ×3, first 2 shown]
	v_add_f64 v[4:5], v[95:96], v[4:5]
	v_add_f64 v[95:96], v[119:120], v[109:110]
	v_fma_f64 v[125:126], v[28:29], s[28:29], v[103:104]
	v_fma_f64 v[101:102], v[36:37], s[20:21], -v[101:102]
	v_add_f64 v[8:9], v[117:118], v[8:9]
	v_add_f64 v[97:98], v[97:98], v[6:7]
	v_mul_f64 v[109:110], v[80:81], s[8:9]
	v_fma_f64 v[117:118], v[58:59], s[26:27], v[113:114]
	v_add_f64 v[99:100], v[2:3], v[99:100]
	v_fma_f64 v[119:120], v[78:79], s[10:11], v[115:116]
	v_mul_f64 v[121:122], v[82:83], s[28:29]
	v_add_f64 v[10:11], v[10:11], v[4:5]
	v_add_f64 v[4:5], v[111:112], v[95:96]
	v_fma_f64 v[95:96], v[28:29], s[26:27], v[103:104]
	v_add_f64 v[6:7], v[125:126], v[8:9]
	v_add_f64 v[8:9], v[101:102], v[97:98]
	v_fma_f64 v[97:98], v[32:33], s[22:23], -v[105:106]
	v_add_f64 v[101:102], v[0:1], v[119:120]
	v_fma_f64 v[103:104], v[60:61], s[22:23], v[121:122]
	v_mul_f64 v[105:106], v[70:71], s[12:13]
	v_add_f64 v[99:100], v[117:118], v[99:100]
	v_fma_f64 v[111:112], v[54:55], s[16:17], v[109:110]
	v_fma_f64 v[107:108], v[76:77], s[14:15], v[107:108]
	v_mul_f64 v[117:118], v[66:67], s[0:1]
	v_add_f64 v[10:11], v[95:96], v[10:11]
	v_fma_f64 v[95:96], v[78:79], s[10:11], -v[115:116]
	v_add_f64 v[101:102], v[103:104], v[101:102]
	v_fma_f64 v[103:104], v[48:49], s[8:9], v[105:106]
	v_mul_f64 v[115:116], v[62:63], s[6:7]
	v_fma_f64 v[113:114], v[58:59], s[28:29], v[113:114]
	v_add_f64 v[107:108], v[2:3], v[107:108]
	v_add_f64 v[8:9], v[97:98], v[8:9]
	v_fma_f64 v[97:98], v[60:61], s[22:23], -v[121:122]
	v_add_f64 v[95:96], v[0:1], v[95:96]
	v_add_f64 v[99:100], v[111:112], v[99:100]
	v_fma_f64 v[111:112], v[46:47], s[4:5], v[117:118]
	v_add_f64 v[101:102], v[103:104], v[101:102]
	v_fma_f64 v[103:104], v[36:37], s[0:1], v[115:116]
	v_add_f64 v[107:108], v[113:114], v[107:108]
	v_mul_f64 v[113:114], v[50:51], s[20:21]
	v_fma_f64 v[109:110], v[54:55], s[12:13], v[109:110]
	v_add_f64 v[95:96], v[97:98], v[95:96]
	v_fma_f64 v[97:98], v[48:49], s[8:9], -v[105:106]
	v_add_f64 v[99:100], v[111:112], v[99:100]
	v_mul_f64 v[111:112], v[92:93], s[22:23]
	v_mul_f64 v[119:120], v[90:91], s[26:27]
	;; [unrolled: 1-line block ×3, first 2 shown]
	v_add_f64 v[101:102], v[103:104], v[101:102]
	v_fma_f64 v[103:104], v[28:29], s[24:25], v[113:114]
	v_add_f64 v[107:108], v[109:110], v[107:108]
	v_add_f64 v[95:96], v[97:98], v[95:96]
	v_fma_f64 v[109:110], v[46:47], s[6:7], v[117:118]
	v_fma_f64 v[115:116], v[36:37], s[0:1], -v[115:116]
	v_fma_f64 v[117:118], v[76:77], s[28:29], v[111:112]
	v_mul_f64 v[121:122], v[86:87], s[0:1]
	v_fma_f64 v[125:126], v[78:79], s[22:23], v[119:120]
	v_mul_f64 v[127:128], v[82:83], s[4:5]
	v_fma_f64 v[123:124], v[32:33], s[20:21], v[105:106]
	v_add_f64 v[97:98], v[103:104], v[99:100]
	v_add_f64 v[99:100], v[109:110], v[107:108]
	;; [unrolled: 1-line block ×4, first 2 shown]
	v_fma_f64 v[109:110], v[58:59], s[6:7], v[121:122]
	v_mul_f64 v[115:116], v[80:81], s[20:21]
	v_add_f64 v[117:118], v[0:1], v[125:126]
	v_fma_f64 v[125:126], v[60:61], s[0:1], v[127:128]
	v_mul_f64 v[129:130], v[70:71], s[30:31]
	v_fma_f64 v[113:114], v[28:29], s[30:31], v[113:114]
	v_fma_f64 v[105:106], v[32:33], s[20:21], -v[105:106]
	v_add_f64 v[95:96], v[123:124], v[101:102]
	v_add_f64 v[107:108], v[109:110], v[107:108]
	v_fma_f64 v[109:110], v[54:55], s[24:25], v[115:116]
	v_mul_f64 v[123:124], v[66:67], s[8:9]
	v_add_f64 v[117:118], v[125:126], v[117:118]
	v_fma_f64 v[125:126], v[48:49], s[20:21], v[129:130]
	v_add_f64 v[101:102], v[113:114], v[99:100]
	v_add_f64 v[99:100], v[105:106], v[103:104]
	v_fma_f64 v[103:104], v[76:77], s[26:27], v[111:112]
	v_mul_f64 v[111:112], v[62:63], s[12:13]
	v_add_f64 v[105:106], v[109:110], v[107:108]
	v_fma_f64 v[107:108], v[78:79], s[22:23], -v[119:120]
	v_fma_f64 v[109:110], v[46:47], s[16:17], v[123:124]
	v_add_f64 v[113:114], v[125:126], v[117:118]
	v_mul_f64 v[117:118], v[50:51], s[10:11]
	v_fma_f64 v[119:120], v[58:59], s[4:5], v[121:122]
	v_add_f64 v[103:104], v[2:3], v[103:104]
	v_fma_f64 v[121:122], v[36:37], s[8:9], v[111:112]
	v_fma_f64 v[125:126], v[60:61], s[0:1], -v[127:128]
	v_add_f64 v[107:108], v[0:1], v[107:108]
	v_add_f64 v[105:106], v[109:110], v[105:106]
	v_mul_f64 v[127:128], v[92:93], s[20:21]
	v_fma_f64 v[109:110], v[28:29], s[18:19], v[117:118]
	v_mul_f64 v[131:132], v[40:41], s[14:15]
	v_add_f64 v[103:104], v[119:120], v[103:104]
	v_fma_f64 v[115:116], v[54:55], s[30:31], v[115:116]
	v_add_f64 v[113:114], v[121:122], v[113:114]
	v_add_f64 v[107:108], v[125:126], v[107:108]
	v_fma_f64 v[119:120], v[48:49], s[20:21], -v[129:130]
	v_fma_f64 v[121:122], v[76:77], s[30:31], v[127:128]
	v_mul_f64 v[125:126], v[86:87], s[10:11]
	v_add_f64 v[105:106], v[109:110], v[105:106]
	v_fma_f64 v[109:110], v[32:33], s[10:11], v[131:132]
	v_mul_f64 v[129:130], v[90:91], s[24:25]
	v_add_f64 v[115:116], v[115:116], v[103:104]
	v_fma_f64 v[123:124], v[46:47], s[12:13], v[123:124]
	v_add_f64 v[107:108], v[119:120], v[107:108]
	v_add_f64 v[119:120], v[2:3], v[121:122]
	v_fma_f64 v[121:122], v[58:59], s[18:19], v[125:126]
	v_mul_f64 v[133:134], v[80:81], s[0:1]
	v_fma_f64 v[111:112], v[36:37], s[8:9], -v[111:112]
	v_add_f64 v[103:104], v[109:110], v[113:114]
	v_fma_f64 v[109:110], v[78:79], s[20:21], v[129:130]
	v_mul_f64 v[113:114], v[82:83], s[14:15]
	v_add_f64 v[115:116], v[123:124], v[115:116]
	v_fma_f64 v[117:118], v[28:29], s[14:15], v[117:118]
	v_add_f64 v[119:120], v[121:122], v[119:120]
	v_fma_f64 v[121:122], v[54:55], s[6:7], v[133:134]
	v_add_f64 v[107:108], v[111:112], v[107:108]
	v_mul_f64 v[111:112], v[66:67], s[22:23]
	v_add_f64 v[123:124], v[0:1], v[109:110]
	v_fma_f64 v[135:136], v[60:61], s[10:11], v[113:114]
	v_mul_f64 v[137:138], v[70:71], s[4:5]
	v_add_f64 v[88:89], v[2:3], v[88:89]
	v_add_f64 v[84:85], v[0:1], v[84:85]
	;; [unrolled: 1-line block ×4, first 2 shown]
	v_fma_f64 v[117:118], v[76:77], s[24:25], v[127:128]
	v_fma_f64 v[119:120], v[46:47], s[26:27], v[111:112]
	v_fma_f64 v[121:122], v[78:79], s[20:21], -v[129:130]
	v_add_f64 v[123:124], v[135:136], v[123:124]
	v_fma_f64 v[127:128], v[48:49], s[0:1], v[137:138]
	v_mul_f64 v[129:130], v[62:63], s[28:29]
	v_mul_f64 v[135:136], v[50:51], s[8:9]
	v_add_f64 v[74:75], v[74:75], v[88:89]
	v_add_f64 v[72:73], v[72:73], v[84:85]
	v_fma_f64 v[113:114], v[60:61], s[10:11], -v[113:114]
	v_add_f64 v[121:122], v[0:1], v[121:122]
	v_add_f64 v[115:116], v[119:120], v[115:116]
	;; [unrolled: 1-line block ×3, first 2 shown]
	v_fma_f64 v[123:124], v[36:37], s[22:23], v[129:130]
	v_fma_f64 v[127:128], v[28:29], s[12:13], v[135:136]
	v_mul_f64 v[139:140], v[40:41], s[16:17]
	v_mul_f64 v[92:93], v[92:93], s[8:9]
	v_add_f64 v[68:69], v[68:69], v[74:75]
	v_add_f64 v[64:65], v[64:65], v[72:73]
	;; [unrolled: 1-line block ×3, first 2 shown]
	v_mul_f64 v[90:91], v[90:91], s[12:13]
	v_add_f64 v[119:120], v[123:124], v[119:120]
	v_add_f64 v[113:114], v[127:128], v[115:116]
	v_fma_f64 v[115:116], v[32:33], s[8:9], v[139:140]
	v_fma_f64 v[127:128], v[76:77], s[16:17], v[92:93]
	v_mul_f64 v[86:87], v[86:87], s[20:21]
	v_add_f64 v[56:57], v[56:57], v[68:69]
	v_add_f64 v[52:53], v[52:53], v[64:65]
	v_fma_f64 v[123:124], v[46:47], s[28:29], v[111:112]
	v_fma_f64 v[88:89], v[78:79], s[8:9], v[90:91]
	;; [unrolled: 5-line block ×3, first 2 shown]
	v_fma_f64 v[78:79], v[78:79], s[8:9], -v[90:91]
	v_add_f64 v[38:39], v[38:39], v[56:57]
	v_add_f64 v[42:43], v[42:43], v[52:53]
	v_fma_f64 v[125:126], v[58:59], s[14:15], v[125:126]
	v_add_f64 v[117:118], v[2:3], v[117:118]
	v_mul_f64 v[74:75], v[80:81], s[22:23]
	v_add_f64 v[72:73], v[0:1], v[88:89]
	v_add_f64 v[80:81], v[119:120], v[84:85]
	v_fma_f64 v[84:85], v[60:61], s[20:21], v[82:83]
	v_mul_f64 v[70:71], v[70:71], s[26:27]
	v_add_f64 v[2:3], v[2:3], v[76:77]
	v_fma_f64 v[56:57], v[58:59], s[24:25], v[86:87]
	v_add_f64 v[0:1], v[0:1], v[78:79]
	v_fma_f64 v[60:61], v[60:61], s[20:21], -v[82:83]
	v_add_f64 v[30:31], v[30:31], v[38:39]
	v_add_f64 v[34:35], v[34:35], v[42:43]
	;; [unrolled: 1-line block ×3, first 2 shown]
	v_fma_f64 v[125:126], v[54:55], s[4:5], v[133:134]
	v_fma_f64 v[133:134], v[48:49], s[0:1], -v[137:138]
	v_mul_f64 v[64:65], v[66:67], s[10:11]
	v_add_f64 v[66:67], v[84:85], v[72:73]
	v_fma_f64 v[72:73], v[48:49], s[22:23], v[70:71]
	v_mul_f64 v[62:63], v[62:63], s[14:15]
	v_fma_f64 v[42:43], v[54:55], s[26:27], v[74:75]
	v_add_f64 v[2:3], v[56:57], v[2:3]
	v_fma_f64 v[48:49], v[48:49], s[22:23], -v[70:71]
	v_add_f64 v[0:1], v[60:61], v[0:1]
	v_add_f64 v[24:25], v[24:25], v[30:31]
	;; [unrolled: 1-line block ×3, first 2 shown]
	v_fma_f64 v[68:69], v[54:55], s[28:29], v[74:75]
	v_add_f64 v[117:118], v[125:126], v[117:118]
	v_fma_f64 v[125:126], v[36:37], s[22:23], -v[129:130]
	v_add_f64 v[58:59], v[72:73], v[66:67]
	v_fma_f64 v[66:67], v[36:37], s[10:11], v[62:63]
	v_mul_f64 v[30:31], v[50:51], s[0:1]
	v_fma_f64 v[34:35], v[46:47], s[14:15], v[64:65]
	v_add_f64 v[2:3], v[42:43], v[2:3]
	v_fma_f64 v[36:37], v[36:37], s[10:11], -v[62:63]
	v_add_f64 v[0:1], v[48:49], v[0:1]
	v_add_f64 v[12:13], v[12:13], v[24:25]
	;; [unrolled: 1-line block ×4, first 2 shown]
	v_fma_f64 v[52:53], v[46:47], s[18:19], v[64:65]
	v_mul_f64 v[40:41], v[40:41], s[6:7]
	v_add_f64 v[121:122], v[133:134], v[121:122]
	v_fma_f64 v[88:89], v[28:29], s[16:17], v[135:136]
	v_fma_f64 v[24:25], v[28:29], s[4:5], v[30:31]
	;; [unrolled: 1-line block ×3, first 2 shown]
	v_add_f64 v[28:29], v[34:35], v[2:3]
	v_add_f64 v[34:35], v[36:37], v[0:1]
	;; [unrolled: 1-line block ×4, first 2 shown]
	v_fma_f64 v[131:132], v[32:33], s[10:11], -v[131:132]
	v_fma_f64 v[90:91], v[32:33], s[8:9], -v[139:140]
	v_add_f64 v[38:39], v[52:53], v[68:69]
	v_fma_f64 v[30:31], v[32:33], s[0:1], v[40:41]
	v_fma_f64 v[32:33], v[32:33], s[0:1], -v[40:41]
	v_add_f64 v[115:116], v[123:124], v[117:118]
	v_add_f64 v[117:118], v[125:126], v[121:122]
	;; [unrolled: 1-line block ×11, first 2 shown]
	v_mov_b32_e32 v16, s3
	v_add_co_u32_e32 v17, vcc, s2, v44
	v_addc_co_u32_e32 v26, vcc, v16, v45, vcc
	v_add_co_u32_e32 v16, vcc, v17, v94
	v_addc_co_u32_e32 v17, vcc, 0, v26, vcc
	v_add_f64 v[18:19], v[30:31], v[52:53]
	global_store_dwordx4 v[16:17], v[12:15], off
	global_store_dwordx4 v[16:17], v[22:25], off offset:80
	global_store_dwordx4 v[16:17], v[0:3], off offset:160
	;; [unrolled: 1-line block ×10, first 2 shown]
	s_endpgm
	.section	.rodata,"a",@progbits
	.p2align	6, 0x0
	.amdhsa_kernel fft_rtc_fwd_len55_factors_5_11_wgs_55_tpt_11_dim1_dp_ip_CI_unitstride_sbrr_dirReg
		.amdhsa_group_segment_fixed_size 0
		.amdhsa_private_segment_fixed_size 0
		.amdhsa_kernarg_size 80
		.amdhsa_user_sgpr_count 6
		.amdhsa_user_sgpr_private_segment_buffer 1
		.amdhsa_user_sgpr_dispatch_ptr 0
		.amdhsa_user_sgpr_queue_ptr 0
		.amdhsa_user_sgpr_kernarg_segment_ptr 1
		.amdhsa_user_sgpr_dispatch_id 0
		.amdhsa_user_sgpr_flat_scratch_init 0
		.amdhsa_user_sgpr_private_segment_size 0
		.amdhsa_uses_dynamic_stack 0
		.amdhsa_system_sgpr_private_segment_wavefront_offset 0
		.amdhsa_system_sgpr_workgroup_id_x 1
		.amdhsa_system_sgpr_workgroup_id_y 0
		.amdhsa_system_sgpr_workgroup_id_z 0
		.amdhsa_system_sgpr_workgroup_info 0
		.amdhsa_system_vgpr_workitem_id 0
		.amdhsa_next_free_vgpr 141
		.amdhsa_next_free_sgpr 32
		.amdhsa_reserve_vcc 1
		.amdhsa_reserve_flat_scratch 0
		.amdhsa_float_round_mode_32 0
		.amdhsa_float_round_mode_16_64 0
		.amdhsa_float_denorm_mode_32 3
		.amdhsa_float_denorm_mode_16_64 3
		.amdhsa_dx10_clamp 1
		.amdhsa_ieee_mode 1
		.amdhsa_fp16_overflow 0
		.amdhsa_exception_fp_ieee_invalid_op 0
		.amdhsa_exception_fp_denorm_src 0
		.amdhsa_exception_fp_ieee_div_zero 0
		.amdhsa_exception_fp_ieee_overflow 0
		.amdhsa_exception_fp_ieee_underflow 0
		.amdhsa_exception_fp_ieee_inexact 0
		.amdhsa_exception_int_div_zero 0
	.end_amdhsa_kernel
	.text
.Lfunc_end0:
	.size	fft_rtc_fwd_len55_factors_5_11_wgs_55_tpt_11_dim1_dp_ip_CI_unitstride_sbrr_dirReg, .Lfunc_end0-fft_rtc_fwd_len55_factors_5_11_wgs_55_tpt_11_dim1_dp_ip_CI_unitstride_sbrr_dirReg
                                        ; -- End function
	.section	.AMDGPU.csdata,"",@progbits
; Kernel info:
; codeLenInByte = 4120
; NumSgprs: 36
; NumVgprs: 141
; ScratchSize: 0
; MemoryBound: 1
; FloatMode: 240
; IeeeMode: 1
; LDSByteSize: 0 bytes/workgroup (compile time only)
; SGPRBlocks: 4
; VGPRBlocks: 35
; NumSGPRsForWavesPerEU: 36
; NumVGPRsForWavesPerEU: 141
; Occupancy: 1
; WaveLimiterHint : 1
; COMPUTE_PGM_RSRC2:SCRATCH_EN: 0
; COMPUTE_PGM_RSRC2:USER_SGPR: 6
; COMPUTE_PGM_RSRC2:TRAP_HANDLER: 0
; COMPUTE_PGM_RSRC2:TGID_X_EN: 1
; COMPUTE_PGM_RSRC2:TGID_Y_EN: 0
; COMPUTE_PGM_RSRC2:TGID_Z_EN: 0
; COMPUTE_PGM_RSRC2:TIDIG_COMP_CNT: 0
	.type	__hip_cuid_b91b20cdd92aefa7,@object ; @__hip_cuid_b91b20cdd92aefa7
	.section	.bss,"aw",@nobits
	.globl	__hip_cuid_b91b20cdd92aefa7
__hip_cuid_b91b20cdd92aefa7:
	.byte	0                               ; 0x0
	.size	__hip_cuid_b91b20cdd92aefa7, 1

	.ident	"AMD clang version 19.0.0git (https://github.com/RadeonOpenCompute/llvm-project roc-6.4.0 25133 c7fe45cf4b819c5991fe208aaa96edf142730f1d)"
	.section	".note.GNU-stack","",@progbits
	.addrsig
	.addrsig_sym __hip_cuid_b91b20cdd92aefa7
	.amdgpu_metadata
---
amdhsa.kernels:
  - .args:
      - .actual_access:  read_only
        .address_space:  global
        .offset:         0
        .size:           8
        .value_kind:     global_buffer
      - .actual_access:  read_only
        .address_space:  global
        .offset:         8
        .size:           8
        .value_kind:     global_buffer
      - .actual_access:  read_only
        .address_space:  global
        .offset:         16
        .size:           8
        .value_kind:     global_buffer
      - .offset:         24
        .size:           8
        .value_kind:     by_value
      - .actual_access:  read_only
        .address_space:  global
        .offset:         32
        .size:           8
        .value_kind:     global_buffer
      - .actual_access:  read_only
        .address_space:  global
        .offset:         40
        .size:           8
        .value_kind:     global_buffer
      - .offset:         48
        .size:           4
        .value_kind:     by_value
      - .actual_access:  read_only
        .address_space:  global
        .offset:         56
        .size:           8
        .value_kind:     global_buffer
      - .actual_access:  read_only
        .address_space:  global
        .offset:         64
        .size:           8
        .value_kind:     global_buffer
      - .address_space:  global
        .offset:         72
        .size:           8
        .value_kind:     global_buffer
    .group_segment_fixed_size: 0
    .kernarg_segment_align: 8
    .kernarg_segment_size: 80
    .language:       OpenCL C
    .language_version:
      - 2
      - 0
    .max_flat_workgroup_size: 55
    .name:           fft_rtc_fwd_len55_factors_5_11_wgs_55_tpt_11_dim1_dp_ip_CI_unitstride_sbrr_dirReg
    .private_segment_fixed_size: 0
    .sgpr_count:     36
    .sgpr_spill_count: 0
    .symbol:         fft_rtc_fwd_len55_factors_5_11_wgs_55_tpt_11_dim1_dp_ip_CI_unitstride_sbrr_dirReg.kd
    .uniform_work_group_size: 1
    .uses_dynamic_stack: false
    .vgpr_count:     141
    .vgpr_spill_count: 0
    .wavefront_size: 64
amdhsa.target:   amdgcn-amd-amdhsa--gfx906
amdhsa.version:
  - 1
  - 2
...

	.end_amdgpu_metadata
